;; amdgpu-corpus repo=ROCm/rocFFT kind=compiled arch=gfx950 opt=O3
	.text
	.amdgcn_target "amdgcn-amd-amdhsa--gfx950"
	.amdhsa_code_object_version 6
	.protected	fft_rtc_fwd_len2400_factors_4_10_10_6_wgs_240_tpt_240_halfLds_sp_ip_CI_unitstride_sbrr_dirReg ; -- Begin function fft_rtc_fwd_len2400_factors_4_10_10_6_wgs_240_tpt_240_halfLds_sp_ip_CI_unitstride_sbrr_dirReg
	.globl	fft_rtc_fwd_len2400_factors_4_10_10_6_wgs_240_tpt_240_halfLds_sp_ip_CI_unitstride_sbrr_dirReg
	.p2align	8
	.type	fft_rtc_fwd_len2400_factors_4_10_10_6_wgs_240_tpt_240_halfLds_sp_ip_CI_unitstride_sbrr_dirReg,@function
fft_rtc_fwd_len2400_factors_4_10_10_6_wgs_240_tpt_240_halfLds_sp_ip_CI_unitstride_sbrr_dirReg: ; @fft_rtc_fwd_len2400_factors_4_10_10_6_wgs_240_tpt_240_halfLds_sp_ip_CI_unitstride_sbrr_dirReg
; %bb.0:
	s_load_dwordx2 s[8:9], s[0:1], 0x50
	s_load_dwordx4 s[4:7], s[0:1], 0x0
	s_load_dwordx2 s[10:11], s[0:1], 0x18
	v_mul_u32_u24_e32 v1, 0x112, v0
	v_add_u32_sdwa v6, s2, v1 dst_sel:DWORD dst_unused:UNUSED_PAD src0_sel:DWORD src1_sel:WORD_1
	v_mov_b32_e32 v4, 0
	s_waitcnt lgkmcnt(0)
	v_cmp_lt_u64_e64 s[2:3], s[6:7], 2
	v_mov_b32_e32 v7, v4
	s_and_b64 vcc, exec, s[2:3]
	v_mov_b64_e32 v[2:3], 0
	s_cbranch_vccnz .LBB0_8
; %bb.1:
	s_load_dwordx2 s[2:3], s[0:1], 0x10
	s_add_u32 s12, s10, 8
	s_addc_u32 s13, s11, 0
	s_mov_b64 s[14:15], 1
	v_mov_b64_e32 v[2:3], 0
	s_waitcnt lgkmcnt(0)
	s_add_u32 s16, s2, 8
	s_addc_u32 s17, s3, 0
.LBB0_2:                                ; =>This Inner Loop Header: Depth=1
	s_load_dwordx2 s[18:19], s[16:17], 0x0
                                        ; implicit-def: $vgpr8_vgpr9
	s_waitcnt lgkmcnt(0)
	v_or_b32_e32 v5, s19, v7
	v_cmp_ne_u64_e32 vcc, 0, v[4:5]
	s_and_saveexec_b64 s[2:3], vcc
	s_xor_b64 s[20:21], exec, s[2:3]
	s_cbranch_execz .LBB0_4
; %bb.3:                                ;   in Loop: Header=BB0_2 Depth=1
	v_cvt_f32_u32_e32 v1, s18
	v_cvt_f32_u32_e32 v5, s19
	s_sub_u32 s2, 0, s18
	s_subb_u32 s3, 0, s19
	v_fmac_f32_e32 v1, 0x4f800000, v5
	v_rcp_f32_e32 v1, v1
	s_nop 0
	v_mul_f32_e32 v1, 0x5f7ffffc, v1
	v_mul_f32_e32 v5, 0x2f800000, v1
	v_trunc_f32_e32 v5, v5
	v_fmac_f32_e32 v1, 0xcf800000, v5
	v_cvt_u32_f32_e32 v5, v5
	v_cvt_u32_f32_e32 v1, v1
	v_mul_lo_u32 v8, s2, v5
	v_mul_hi_u32 v10, s2, v1
	v_mul_lo_u32 v9, s3, v1
	v_add_u32_e32 v10, v10, v8
	v_mul_lo_u32 v12, s2, v1
	v_add_u32_e32 v13, v10, v9
	v_mul_hi_u32 v8, v1, v12
	v_mul_hi_u32 v11, v1, v13
	v_mul_lo_u32 v10, v1, v13
	v_mov_b32_e32 v9, v4
	v_lshl_add_u64 v[8:9], v[8:9], 0, v[10:11]
	v_mul_hi_u32 v11, v5, v12
	v_mul_lo_u32 v12, v5, v12
	v_add_co_u32_e32 v8, vcc, v8, v12
	v_mul_hi_u32 v10, v5, v13
	s_nop 0
	v_addc_co_u32_e32 v8, vcc, v9, v11, vcc
	v_mov_b32_e32 v9, v4
	s_nop 0
	v_addc_co_u32_e32 v11, vcc, 0, v10, vcc
	v_mul_lo_u32 v10, v5, v13
	v_lshl_add_u64 v[8:9], v[8:9], 0, v[10:11]
	v_add_co_u32_e32 v1, vcc, v1, v8
	v_mul_lo_u32 v10, s2, v1
	s_nop 0
	v_addc_co_u32_e32 v5, vcc, v5, v9, vcc
	v_mul_lo_u32 v8, s2, v5
	v_mul_hi_u32 v9, s2, v1
	v_add_u32_e32 v8, v9, v8
	v_mul_lo_u32 v9, s3, v1
	v_add_u32_e32 v12, v8, v9
	v_mul_hi_u32 v14, v5, v10
	v_mul_lo_u32 v15, v5, v10
	v_mul_hi_u32 v9, v1, v12
	v_mul_lo_u32 v8, v1, v12
	v_mul_hi_u32 v10, v1, v10
	v_mov_b32_e32 v11, v4
	v_lshl_add_u64 v[8:9], v[10:11], 0, v[8:9]
	v_add_co_u32_e32 v8, vcc, v8, v15
	v_mul_hi_u32 v13, v5, v12
	s_nop 0
	v_addc_co_u32_e32 v8, vcc, v9, v14, vcc
	v_mul_lo_u32 v10, v5, v12
	s_nop 0
	v_addc_co_u32_e32 v11, vcc, 0, v13, vcc
	v_mov_b32_e32 v9, v4
	v_lshl_add_u64 v[8:9], v[8:9], 0, v[10:11]
	v_add_co_u32_e32 v1, vcc, v1, v8
	v_mul_hi_u32 v10, v6, v1
	s_nop 0
	v_addc_co_u32_e32 v5, vcc, v5, v9, vcc
	v_mad_u64_u32 v[8:9], s[2:3], v6, v5, 0
	v_mov_b32_e32 v11, v4
	v_lshl_add_u64 v[8:9], v[10:11], 0, v[8:9]
	v_mad_u64_u32 v[12:13], s[2:3], v7, v1, 0
	v_add_co_u32_e32 v1, vcc, v8, v12
	v_mad_u64_u32 v[10:11], s[2:3], v7, v5, 0
	s_nop 0
	v_addc_co_u32_e32 v8, vcc, v9, v13, vcc
	v_mov_b32_e32 v9, v4
	s_nop 0
	v_addc_co_u32_e32 v11, vcc, 0, v11, vcc
	v_lshl_add_u64 v[8:9], v[8:9], 0, v[10:11]
	v_mul_lo_u32 v1, s19, v8
	v_mul_lo_u32 v5, s18, v9
	v_mad_u64_u32 v[10:11], s[2:3], s18, v8, 0
	v_add3_u32 v1, v11, v5, v1
	v_sub_u32_e32 v5, v7, v1
	v_mov_b32_e32 v11, s19
	v_sub_co_u32_e32 v14, vcc, v6, v10
	v_lshl_add_u64 v[12:13], v[8:9], 0, 1
	s_nop 0
	v_subb_co_u32_e64 v5, s[2:3], v5, v11, vcc
	v_subrev_co_u32_e64 v10, s[2:3], s18, v14
	v_subb_co_u32_e32 v1, vcc, v7, v1, vcc
	s_nop 0
	v_subbrev_co_u32_e64 v5, s[2:3], 0, v5, s[2:3]
	v_cmp_le_u32_e64 s[2:3], s19, v5
	v_cmp_le_u32_e32 vcc, s19, v1
	s_nop 0
	v_cndmask_b32_e64 v11, 0, -1, s[2:3]
	v_cmp_le_u32_e64 s[2:3], s18, v10
	s_nop 1
	v_cndmask_b32_e64 v10, 0, -1, s[2:3]
	v_cmp_eq_u32_e64 s[2:3], s19, v5
	s_nop 1
	v_cndmask_b32_e64 v5, v11, v10, s[2:3]
	v_lshl_add_u64 v[10:11], v[8:9], 0, 2
	v_cmp_ne_u32_e64 s[2:3], 0, v5
	s_nop 1
	v_cndmask_b32_e64 v5, v13, v11, s[2:3]
	v_cndmask_b32_e64 v11, 0, -1, vcc
	v_cmp_le_u32_e32 vcc, s18, v14
	s_nop 1
	v_cndmask_b32_e64 v13, 0, -1, vcc
	v_cmp_eq_u32_e32 vcc, s19, v1
	s_nop 1
	v_cndmask_b32_e32 v1, v11, v13, vcc
	v_cmp_ne_u32_e32 vcc, 0, v1
	v_cndmask_b32_e64 v1, v12, v10, s[2:3]
	s_nop 0
	v_cndmask_b32_e32 v9, v9, v5, vcc
	v_cndmask_b32_e32 v8, v8, v1, vcc
.LBB0_4:                                ;   in Loop: Header=BB0_2 Depth=1
	s_andn2_saveexec_b64 s[2:3], s[20:21]
	s_cbranch_execz .LBB0_6
; %bb.5:                                ;   in Loop: Header=BB0_2 Depth=1
	v_cvt_f32_u32_e32 v1, s18
	s_sub_i32 s20, 0, s18
	v_rcp_iflag_f32_e32 v1, v1
	s_nop 0
	v_mul_f32_e32 v1, 0x4f7ffffe, v1
	v_cvt_u32_f32_e32 v1, v1
	v_mul_lo_u32 v5, s20, v1
	v_mul_hi_u32 v5, v1, v5
	v_add_u32_e32 v1, v1, v5
	v_mul_hi_u32 v1, v6, v1
	v_mul_lo_u32 v5, v1, s18
	v_sub_u32_e32 v5, v6, v5
	v_add_u32_e32 v8, 1, v1
	v_subrev_u32_e32 v9, s18, v5
	v_cmp_le_u32_e32 vcc, s18, v5
	s_nop 1
	v_cndmask_b32_e32 v5, v5, v9, vcc
	v_cndmask_b32_e32 v1, v1, v8, vcc
	v_add_u32_e32 v8, 1, v1
	v_cmp_le_u32_e32 vcc, s18, v5
	v_mov_b32_e32 v9, v4
	s_nop 0
	v_cndmask_b32_e32 v8, v1, v8, vcc
.LBB0_6:                                ;   in Loop: Header=BB0_2 Depth=1
	s_or_b64 exec, exec, s[2:3]
	v_mad_u64_u32 v[10:11], s[2:3], v8, s18, 0
	s_load_dwordx2 s[2:3], s[12:13], 0x0
	v_mul_lo_u32 v1, v9, s18
	v_mul_lo_u32 v5, v8, s19
	v_add3_u32 v1, v11, v5, v1
	v_sub_co_u32_e32 v5, vcc, v6, v10
	s_add_u32 s14, s14, 1
	s_nop 0
	v_subb_co_u32_e32 v1, vcc, v7, v1, vcc
	s_addc_u32 s15, s15, 0
	s_waitcnt lgkmcnt(0)
	v_mul_lo_u32 v1, s2, v1
	v_mul_lo_u32 v6, s3, v5
	v_mad_u64_u32 v[2:3], s[2:3], s2, v5, v[2:3]
	s_add_u32 s12, s12, 8
	v_add3_u32 v3, v6, v3, v1
	s_addc_u32 s13, s13, 0
	v_mov_b64_e32 v[6:7], s[6:7]
	s_add_u32 s16, s16, 8
	v_cmp_ge_u64_e32 vcc, s[14:15], v[6:7]
	s_addc_u32 s17, s17, 0
	s_cbranch_vccnz .LBB0_9
; %bb.7:                                ;   in Loop: Header=BB0_2 Depth=1
	v_mov_b64_e32 v[6:7], v[8:9]
	s_branch .LBB0_2
.LBB0_8:
	v_mov_b64_e32 v[8:9], v[6:7]
.LBB0_9:
	s_lshl_b64 s[2:3], s[6:7], 3
	s_add_u32 s2, s10, s2
	s_addc_u32 s3, s11, s3
	s_load_dwordx2 s[6:7], s[2:3], 0x0
	s_load_dwordx2 s[10:11], s[0:1], 0x20
	s_mov_b32 s2, 0x1111112
	v_mov_b32_e32 v6, 0
	v_mov_b32_e32 v7, v6
	s_waitcnt lgkmcnt(0)
	v_mul_lo_u32 v1, s6, v9
	v_mul_lo_u32 v4, s7, v8
	v_mad_u64_u32 v[2:3], s[0:1], s6, v8, v[2:3]
	v_add3_u32 v3, v4, v3, v1
	v_mul_hi_u32 v1, v0, s2
	v_mul_u32_u24_e32 v1, 0xf0, v1
	v_cmp_gt_u64_e64 s[0:1], s[10:11], v[8:9]
	v_sub_u32_e32 v0, v0, v1
	v_lshl_add_u64 v[2:3], v[2:3], 3, s[8:9]
	v_mov_b32_e32 v4, v6
	v_mov_b32_e32 v5, v6
                                        ; implicit-def: $vgpr29
                                        ; implicit-def: $vgpr9
                                        ; implicit-def: $vgpr31
                                        ; implicit-def: $vgpr17
                                        ; implicit-def: $vgpr26
                                        ; implicit-def: $vgpr24
                                        ; implicit-def: $vgpr10
                                        ; implicit-def: $vgpr20
                                        ; implicit-def: $vgpr37
                                        ; implicit-def: $vgpr19
                                        ; implicit-def: $vgpr14
                                        ; implicit-def: $vgpr22
                                        ; implicit-def: $vgpr35
                                        ; implicit-def: $vgpr13
	s_and_saveexec_b64 s[2:3], s[0:1]
	s_cbranch_execz .LBB0_13
; %bb.10:
	v_mov_b32_e32 v1, 0
	v_lshl_add_u64 v[20:21], v[0:1], 3, v[2:3]
	v_add_co_u32_e32 v4, vcc, 0x1000, v20
	global_load_dwordx2 v[10:11], v[20:21], off
	s_nop 0
	v_addc_co_u32_e32 v5, vcc, 0, v21, vcc
	v_add_co_u32_e32 v6, vcc, 0x2000, v20
	s_movk_i32 s6, 0x78
	s_nop 0
	v_addc_co_u32_e32 v7, vcc, 0, v21, vcc
	global_load_dwordx2 v[22:23], v[6:7], off offset:1408
	v_add_co_u32_e32 v24, vcc, 0x3000, v20
                                        ; implicit-def: $vgpr27
	s_nop 1
	v_addc_co_u32_e32 v25, vcc, 0, v21, vcc
	global_load_dwordx2 v[12:13], v[4:5], off offset:2624
	global_load_dwordx2 v[18:19], v[4:5], off offset:704
	;; [unrolled: 1-line block ×6, first 2 shown]
	v_cmp_gt_u32_e32 vcc, s6, v0
	v_mov_b32_e32 v4, v1
	v_mov_b32_e32 v7, v1
	;; [unrolled: 1-line block ×3, first 2 shown]
                                        ; implicit-def: $vgpr25
	s_and_saveexec_b64 s[6:7], vcc
	s_cbranch_execz .LBB0_12
; %bb.11:
	v_add_co_u32_e32 v28, vcc, 0x2000, v20
	s_nop 1
	v_addc_co_u32_e32 v29, vcc, 0, v21, vcc
	v_add_co_u32_e32 v30, vcc, 0x3000, v20
	s_nop 1
	v_addc_co_u32_e32 v31, vcc, 0, v21, vcc
	;; [unrolled: 3-line block ×3, first 2 shown]
	global_load_dwordx2 v[6:7], v[20:21], off offset:3840
	global_load_dwordx2 v[4:5], v[28:29], off offset:448
	;; [unrolled: 1-line block ×4, first 2 shown]
	s_waitcnt vmcnt(2)
	v_mov_b32_e32 v1, v5
.LBB0_12:
	s_or_b64 exec, exec, s[6:7]
	s_waitcnt vmcnt(2)
	v_mov_b32_e32 v29, v8
	s_waitcnt vmcnt(1)
	v_mov_b32_e32 v31, v16
	v_mov_b32_e32 v5, v1
	;; [unrolled: 1-line block ×8, first 2 shown]
	s_waitcnt vmcnt(0)
	v_mov_b32_e32 v15, v32
	v_mov_b32_e32 v23, v33
.LBB0_13:
	s_or_b64 exec, exec, s[2:3]
	v_pk_add_f32 v[26:27], v[6:7], v[26:27] neg_lo:[0,1] neg_hi:[0,1]
	v_pk_add_f32 v[40:41], v[4:5], v[24:25] neg_lo:[0,1] neg_hi:[0,1]
	v_fma_f32 v32, v6, 2.0, -v26
	v_add_f32_e32 v38, v5, v5
	v_mov_b32_e32 v39, v4
	v_mov_b32_e32 v42, v41
	;; [unrolled: 1-line block ×4, first 2 shown]
	v_add_f32_e32 v36, v19, v19
	v_pk_add_f32 v[24:25], v[38:39], v[42:43] neg_lo:[0,1] neg_hi:[0,1]
	v_pk_add_f32 v[38:39], v[10:11], v[6:7] neg_lo:[0,1] neg_hi:[0,1]
	v_sub_f32_e32 v30, v19, v17
	v_fma_f32 v16, v10, 2.0, -v38
	v_pk_add_f32 v[10:11], v[36:37], v[30:31] neg_lo:[0,1] neg_hi:[0,1]
	v_mov_b32_e32 v17, v38
	v_fma_f32 v18, v37, 2.0, -v11
	v_mov_b32_e32 v19, v30
	v_pk_add_f32 v[18:19], v[16:17], v[18:19] neg_lo:[0,1] neg_hi:[0,1]
	v_add_f32_e32 v34, v13, v13
	v_lshl_add_u32 v1, v0, 4, 0
	v_pk_fma_f32 v[16:17], v[16:17], 2.0, v[18:19] op_sel_hi:[1,0,1] neg_lo:[0,0,1] neg_hi:[0,0,1]
	v_mov_b32_e32 v6, v15
	v_sub_f32_e32 v28, v13, v9
	ds_write2_b64 v1, v[16:17], v[18:19] offset1:1
	v_pk_add_f32 v[16:17], v[14:15], v[6:7] neg_lo:[0,1] neg_hi:[0,1]
	v_pk_add_f32 v[8:9], v[34:35], v[28:29] neg_lo:[0,1] neg_hi:[0,1]
	v_fma_f32 v12, v14, 2.0, -v16
	v_mov_b32_e32 v13, v16
	v_fma_f32 v14, v35, 2.0, -v9
	v_mov_b32_e32 v15, v28
	;; [unrolled: 2-line block ×3, first 2 shown]
	v_add_u32_e32 v46, 0xf0, v0
	v_pk_add_f32 v[14:15], v[12:13], v[14:15] neg_lo:[0,1] neg_hi:[0,1]
	v_add_u32_e32 v6, 0x1e0, v0
	s_movk_i32 s2, 0x78
	v_pk_add_f32 v[4:5], v[32:33], v[40:41] neg_lo:[0,1] neg_hi:[0,1]
	v_lshl_add_u32 v30, v46, 4, 0
	v_pk_fma_f32 v[12:13], v[12:13], 2.0, v[14:15] op_sel_hi:[1,0,1] neg_lo:[0,0,1] neg_hi:[0,0,1]
	v_cmp_gt_u32_e32 vcc, s2, v0
	v_lshl_add_u32 v28, v6, 4, 0
	ds_write2_b64 v30, v[12:13], v[14:15] offset1:1
	s_and_saveexec_b64 s[2:3], vcc
	s_cbranch_execz .LBB0_15
; %bb.14:
	v_pk_fma_f32 v[12:13], v[32:33], 2.0, v[4:5] op_sel_hi:[1,0,1] neg_lo:[0,0,1] neg_hi:[0,0,1]
	ds_write2_b64 v28, v[12:13], v[4:5] offset1:1
.LBB0_15:
	s_or_b64 exec, exec, s[2:3]
	v_mov_b32_e32 v6, v21
	v_pk_add_f32 v[12:13], v[20:21], v[6:7] neg_lo:[0,1] neg_hi:[0,1]
	v_mov_b32_e32 v6, v23
	v_fma_f32 v14, v20, 2.0, -v12
	v_mov_b32_e32 v15, v12
	v_pk_add_f32 v[12:13], v[22:23], v[6:7] neg_lo:[0,1] neg_hi:[0,1]
	v_fma_f32 v18, v7, 2.0, -v27
	v_fma_f32 v16, v22, 2.0, -v12
	v_mov_b32_e32 v17, v12
	v_mov_b32_e32 v19, v27
	v_pk_add_f32 v[12:13], v[26:27], v[24:25]
	v_pk_add_f32 v[22:23], v[14:15], v[10:11] neg_lo:[0,1] neg_hi:[0,1]
	v_pk_add_f32 v[20:21], v[14:15], v[10:11]
	v_pk_add_f32 v[26:27], v[16:17], v[8:9] neg_lo:[0,1] neg_hi:[0,1]
	v_pk_add_f32 v[32:33], v[16:17], v[8:9]
	v_mad_i32_i24 v10, v0, -12, v1
	v_mov_b32_e32 v27, v33
	v_add_u32_e32 v11, 0x780, v10
	v_mov_b32_e32 v23, v21
	v_pk_fma_f32 v[34:35], v[16:17], 2.0, v[26:27] op_sel_hi:[1,0,1] neg_lo:[0,0,1] neg_hi:[0,0,1]
	s_waitcnt lgkmcnt(0)
	s_barrier
	ds_read2_b32 v[16:17], v11 offset1:240
	v_add_u32_e32 v11, 0xf00, v10
	v_pk_add_f32 v[6:7], v[18:19], v[24:25] neg_lo:[0,1] neg_hi:[0,1]
	v_pk_fma_f32 v[24:25], v[14:15], 2.0, v[22:23] op_sel_hi:[1,0,1] neg_lo:[0,0,1] neg_hi:[0,0,1]
	ds_read2_b32 v[8:9], v10 offset1:240
	ds_read2_b32 v[14:15], v11 offset1:240
	v_add_u32_e32 v11, 0x1680, v10
	v_add_u32_e32 v10, 0x1e00, v10
	v_mov_b32_e32 v7, v13
	ds_read2_b32 v[12:13], v11 offset1:240
	ds_read2_b32 v[10:11], v10 offset1:240
	v_mul_i32_i24_e32 v20, -12, v0
	s_waitcnt lgkmcnt(0)
	s_barrier
	ds_write2_b64 v1, v[24:25], v[22:23] offset1:1
	ds_write2_b64 v30, v[34:35], v[26:27] offset1:1
	s_and_saveexec_b64 s[2:3], vcc
	s_cbranch_execz .LBB0_17
; %bb.16:
	v_pk_fma_f32 v[18:19], v[18:19], 2.0, v[6:7] op_sel_hi:[1,0,1] neg_lo:[0,0,1] neg_hi:[0,0,1]
	ds_write2_b64 v28, v[18:19], v[6:7] offset1:1
.LBB0_17:
	s_or_b64 exec, exec, s[2:3]
	v_and_b32_e32 v47, 3, v0
	v_mul_u32_u24_e32 v18, 9, v47
	v_lshlrev_b32_e32 v21, 3, v18
	s_waitcnt lgkmcnt(0)
	s_barrier
	global_load_dwordx4 v[22:25], v21, s[4:5]
	global_load_dwordx4 v[26:29], v21, s[4:5] offset:16
	global_load_dwordx4 v[30:33], v21, s[4:5] offset:32
	;; [unrolled: 1-line block ×3, first 2 shown]
	global_load_dwordx2 v[18:19], v21, s[4:5] offset:64
	v_add_u32_e32 v1, v1, v20
	ds_read2_b32 v[20:21], v1 offset1:240
	v_add_u32_e32 v48, 0x780, v1
	v_add_u32_e32 v50, 0xf00, v1
	v_add_u32_e32 v52, 0x1680, v1
	v_add_u32_e32 v54, 0x1e00, v1
	ds_read2_b32 v[38:39], v48 offset1:240
	ds_read2_b32 v[40:41], v50 offset1:240
	;; [unrolled: 1-line block ×4, first 2 shown]
	s_mov_b32 s2, 0x3f737871
	s_mov_b32 s3, 0xbf737871
	;; [unrolled: 1-line block ×3, first 2 shown]
	s_waitcnt lgkmcnt(0)
	s_barrier
	s_mov_b32 s7, 0xbf167918
	s_mov_b32 s8, 0x3e9e377a
	;; [unrolled: 1-line block ×4, first 2 shown]
	s_waitcnt vmcnt(4)
	v_mul_f32_e32 v49, v21, v23
	v_mul_f32_e32 v23, v9, v23
	s_waitcnt vmcnt(3)
	v_mul_f32_e32 v55, v40, v29
	s_waitcnt vmcnt(2)
	v_mul_f32_e32 v57, v42, v33
	v_mul_f32_e32 v51, v38, v25
	;; [unrolled: 1-line block ×5, first 2 shown]
	v_fma_f32 v9, v9, v22, -v49
	v_fmac_f32_e32 v23, v21, v22
	s_waitcnt vmcnt(1)
	v_mul_f32_e32 v21, v44, v37
	v_mul_f32_e32 v22, v10, v37
	v_fma_f32 v14, v14, v28, -v55
	v_fma_f32 v12, v12, v32, -v57
	;; [unrolled: 1-line block ×3, first 2 shown]
	v_fmac_f32_e32 v25, v38, v24
	s_waitcnt vmcnt(0)
	v_mul_f32_e32 v24, v45, v19
	v_mul_f32_e32 v19, v11, v19
	v_fma_f32 v10, v10, v36, -v21
	v_fmac_f32_e32 v22, v44, v36
	v_add_f32_e32 v21, v14, v12
	v_mul_f32_e32 v53, v39, v27
	v_mul_f32_e32 v27, v17, v27
	;; [unrolled: 1-line block ×6, first 2 shown]
	v_fmac_f32_e32 v29, v40, v28
	v_fmac_f32_e32 v33, v42, v32
	v_fma_f32 v11, v11, v18, -v24
	v_fmac_f32_e32 v19, v45, v18
	v_add_f32_e32 v18, v8, v16
	v_sub_f32_e32 v24, v25, v22
	v_add_f32_e32 v32, v16, v10
	v_fma_f32 v21, -0.5, v21, v8
	v_fma_f32 v17, v17, v26, -v53
	v_fmac_f32_e32 v27, v39, v26
	v_fma_f32 v15, v15, v30, -v56
	v_fmac_f32_e32 v31, v41, v30
	;; [unrolled: 2-line block ×3, first 2 shown]
	v_sub_f32_e32 v26, v29, v33
	v_sub_f32_e32 v28, v16, v14
	;; [unrolled: 1-line block ×5, first 2 shown]
	v_add_f32_e32 v18, v18, v14
	v_fmac_f32_e32 v8, -0.5, v32
	v_fmamk_f32 v32, v24, 0x3f737871, v21
	v_fmac_f32_e32 v21, 0xbf737871, v24
	v_add_f32_e32 v28, v28, v30
	v_add_f32_e32 v30, v34, v36
	;; [unrolled: 1-line block ×3, first 2 shown]
	v_fmamk_f32 v34, v26, 0xbf737871, v8
	v_fmac_f32_e32 v8, 0x3f737871, v26
	v_fmac_f32_e32 v32, 0x3f167918, v26
	;; [unrolled: 1-line block ×3, first 2 shown]
	v_add_f32_e32 v26, v29, v33
	v_add_f32_e32 v18, v18, v10
	v_fma_f32 v26, -0.5, v26, v20
	v_sub_f32_e32 v10, v16, v10
	v_fmac_f32_e32 v32, 0x3e9e377a, v28
	v_fmac_f32_e32 v21, 0x3e9e377a, v28
	v_fmamk_f32 v16, v10, 0xbf737871, v26
	v_sub_f32_e32 v12, v14, v12
	v_sub_f32_e32 v14, v25, v29
	;; [unrolled: 1-line block ×3, first 2 shown]
	v_fmac_f32_e32 v26, 0x3f737871, v10
	v_add_f32_e32 v37, v20, v25
	v_fmac_f32_e32 v16, 0xbf167918, v12
	v_add_f32_e32 v14, v14, v28
	v_fmac_f32_e32 v26, 0x3f167918, v12
	v_fmac_f32_e32 v34, 0x3f167918, v24
	;; [unrolled: 1-line block ×3, first 2 shown]
	v_add_f32_e32 v24, v37, v29
	v_fmac_f32_e32 v16, 0x3e9e377a, v14
	v_fmac_f32_e32 v26, 0x3e9e377a, v14
	v_add_f32_e32 v14, v25, v22
	v_add_f32_e32 v24, v24, v33
	v_fmac_f32_e32 v20, -0.5, v14
	v_add_f32_e32 v24, v24, v22
	v_fmamk_f32 v14, v12, 0x3f737871, v20
	v_sub_f32_e32 v25, v29, v25
	v_sub_f32_e32 v22, v33, v22
	v_fmac_f32_e32 v20, 0xbf737871, v12
	v_fmac_f32_e32 v14, 0xbf167918, v10
	v_add_f32_e32 v22, v25, v22
	v_fmac_f32_e32 v20, 0x3f167918, v10
	v_add_f32_e32 v12, v15, v13
	v_fmac_f32_e32 v14, 0x3e9e377a, v22
	v_fmac_f32_e32 v20, 0x3e9e377a, v22
	v_fma_f32 v12, -0.5, v12, v9
	v_sub_f32_e32 v22, v27, v19
	v_fmac_f32_e32 v34, 0x3e9e377a, v30
	v_fmac_f32_e32 v8, 0x3e9e377a, v30
	v_fmamk_f32 v25, v22, 0x3f737871, v12
	v_sub_f32_e32 v28, v31, v35
	v_sub_f32_e32 v29, v17, v15
	;; [unrolled: 1-line block ×3, first 2 shown]
	v_fmac_f32_e32 v12, 0xbf737871, v22
	v_fmac_f32_e32 v25, 0x3f167918, v28
	v_add_f32_e32 v29, v29, v30
	v_fmac_f32_e32 v12, 0xbf167918, v28
	v_add_f32_e32 v10, v9, v17
	v_fmac_f32_e32 v25, 0x3e9e377a, v29
	v_fmac_f32_e32 v12, 0x3e9e377a, v29
	v_add_f32_e32 v29, v17, v11
	v_add_f32_e32 v10, v10, v15
	v_fmac_f32_e32 v9, -0.5, v29
	v_add_f32_e32 v10, v10, v13
	v_fmamk_f32 v29, v28, 0xbf737871, v9
	v_sub_f32_e32 v30, v15, v17
	v_sub_f32_e32 v33, v13, v11
	v_fmac_f32_e32 v9, 0x3f737871, v28
	v_add_f32_e32 v28, v31, v35
	v_add_f32_e32 v10, v10, v11
	v_fmac_f32_e32 v29, 0x3f167918, v22
	v_add_f32_e32 v30, v30, v33
	v_fmac_f32_e32 v9, 0xbf167918, v22
	v_fma_f32 v28, -0.5, v28, v23
	v_sub_f32_e32 v11, v17, v11
	v_fmac_f32_e32 v29, 0x3e9e377a, v30
	v_fmac_f32_e32 v9, 0x3e9e377a, v30
	v_fmamk_f32 v17, v11, 0xbf737871, v28
	v_sub_f32_e32 v13, v15, v13
	v_sub_f32_e32 v15, v27, v31
	;; [unrolled: 1-line block ×3, first 2 shown]
	v_fmac_f32_e32 v28, 0x3f737871, v11
	v_add_f32_e32 v22, v23, v27
	v_fmac_f32_e32 v17, 0xbf167918, v13
	v_add_f32_e32 v15, v15, v30
	;; [unrolled: 2-line block ×3, first 2 shown]
	v_fmac_f32_e32 v17, 0x3e9e377a, v15
	v_fmac_f32_e32 v28, 0x3e9e377a, v15
	v_add_f32_e32 v15, v27, v19
	v_add_f32_e32 v22, v22, v35
	v_fmac_f32_e32 v23, -0.5, v15
	v_add_f32_e32 v22, v22, v19
	v_fmamk_f32 v15, v13, 0x3f737871, v23
	v_sub_f32_e32 v27, v31, v27
	v_sub_f32_e32 v19, v35, v19
	v_fmac_f32_e32 v23, 0xbf737871, v13
	v_add_f32_e32 v19, v27, v19
	v_fmac_f32_e32 v23, 0x3f167918, v11
	v_fmac_f32_e32 v23, 0x3e9e377a, v19
	v_mul_f32_e32 v31, 0x3e9e377a, v9
	v_fma_f32 v31, v23, s2, -v31
	v_mul_f32_e32 v23, 0x3e9e377a, v23
	v_fma_f32 v9, v9, s3, -v23
	v_fmac_f32_e32 v15, 0xbf167918, v11
	v_add_f32_e32 v23, v20, v9
	v_sub_f32_e32 v9, v20, v9
	v_lshrrev_b32_e32 v20, 2, v0
	v_fmac_f32_e32 v15, 0x3e9e377a, v19
	v_mul_f32_e32 v13, 0x3f167918, v17
	v_mul_u32_u24_e32 v20, 40, v20
	v_fmac_f32_e32 v13, 0x3f4f1bbd, v25
	v_mul_f32_e32 v27, 0x3f737871, v15
	v_mul_f32_e32 v35, 0x3f4f1bbd, v12
	v_or_b32_e32 v20, v20, v47
	v_add_f32_e32 v11, v18, v10
	v_add_f32_e32 v19, v32, v13
	v_fmac_f32_e32 v27, 0x3e9e377a, v29
	v_add_f32_e32 v33, v8, v31
	v_fma_f32 v35, v28, s6, -v35
	v_sub_f32_e32 v8, v8, v31
	v_lshl_add_u32 v20, v20, 2, 0
	s_movk_i32 s3, 0xcd
	v_add_f32_e32 v30, v34, v27
	v_add_f32_e32 v36, v21, v35
	v_sub_f32_e32 v10, v18, v10
	v_sub_f32_e32 v13, v32, v13
	;; [unrolled: 1-line block ×4, first 2 shown]
	ds_write2_b32 v20, v11, v19 offset1:4
	ds_write2_b32 v20, v30, v33 offset0:8 offset1:12
	ds_write2_b32 v20, v36, v10 offset0:16 offset1:20
	;; [unrolled: 1-line block ×4, first 2 shown]
	v_mul_lo_u16_sdwa v8, v0, s3 dst_sel:DWORD dst_unused:UNUSED_PAD src0_sel:BYTE_0 src1_sel:DWORD
	v_lshrrev_b16_e32 v47, 13, v8
	v_mul_f32_e32 v25, 0xbf167918, v25
	v_mul_f32_e32 v28, 0x3f4f1bbd, v28
	v_mul_lo_u16_e32 v8, 40, v47
	v_fmac_f32_e32 v25, 0x3f4f1bbd, v17
	v_mul_f32_e32 v29, 0xbf737871, v29
	v_fma_f32 v12, v12, s7, -v28
	v_sub_u16_e32 v62, v0, v8
	v_mov_b32_e32 v8, 9
	v_add_f32_e32 v40, v24, v22
	v_add_f32_e32 v17, v16, v25
	v_fmac_f32_e32 v29, 0x3e9e377a, v15
	v_add_f32_e32 v41, v26, v12
	v_sub_f32_e32 v12, v26, v12
	v_mul_u32_u24_sdwa v8, v62, v8 dst_sel:DWORD dst_unused:UNUSED_PAD src0_sel:BYTE_0 src1_sel:DWORD
	v_add_f32_e32 v15, v14, v29
	v_sub_f32_e32 v22, v24, v22
	v_sub_f32_e32 v16, v16, v25
	;; [unrolled: 1-line block ×3, first 2 shown]
	s_waitcnt lgkmcnt(0)
	s_barrier
	ds_read2_b32 v[42:43], v1 offset1:240
	ds_read2_b32 v[28:29], v48 offset1:240
	;; [unrolled: 1-line block ×5, first 2 shown]
	s_waitcnt lgkmcnt(0)
	s_barrier
	ds_write2_b32 v20, v40, v17 offset1:4
	ds_write2_b32 v20, v15, v23 offset0:8 offset1:12
	ds_write2_b32 v20, v41, v22 offset0:16 offset1:20
	ds_write2_b32 v20, v16, v14 offset0:24 offset1:28
	ds_write2_b32 v20, v9, v12 offset0:32 offset1:36
	v_lshlrev_b32_e32 v12, 3, v8
	s_waitcnt lgkmcnt(0)
	s_barrier
	global_load_dwordx4 v[8:11], v12, s[4:5] offset:288
	global_load_dwordx4 v[16:19], v12, s[4:5] offset:304
	;; [unrolled: 1-line block ×4, first 2 shown]
	global_load_dwordx2 v[14:15], v12, s[4:5] offset:352
	ds_read2_b32 v[12:13], v1 offset1:240
	ds_read2_b32 v[48:49], v48 offset1:240
	;; [unrolled: 1-line block ×5, first 2 shown]
	s_waitcnt lgkmcnt(4)
	v_mov_b32_e32 v30, v13
	v_mov_b32_e32 v32, v43
	s_waitcnt lgkmcnt(0)
	s_barrier
	s_waitcnt vmcnt(4)
	v_pk_mul_f32 v[30:31], v[30:31], v[8:9] op_sel_hi:[0,1]
	v_pk_fma_f32 v[34:35], v[32:33], v[8:9], v[30:31] op_sel:[0,0,1] op_sel_hi:[0,1,0]
	v_pk_fma_f32 v[8:9], v[32:33], v[8:9], v[30:31] op_sel:[0,0,1] op_sel_hi:[0,1,0] neg_lo:[0,0,1] neg_hi:[0,0,1]
	v_mov_b32_e32 v30, v49
	s_waitcnt vmcnt(3)
	v_pk_mul_f32 v[30:31], v[30:31], v[16:17] op_sel_hi:[0,1]
	v_mov_b32_e32 v32, v29
	v_mov_b32_e32 v9, v35
	v_pk_fma_f32 v[34:35], v[32:33], v[16:17], v[30:31] op_sel:[0,0,1] op_sel_hi:[0,1,0]
	v_pk_fma_f32 v[16:17], v[32:33], v[16:17], v[30:31] op_sel:[0,0,1] op_sel_hi:[0,1,0] neg_lo:[0,0,1] neg_hi:[0,0,1]
	v_mov_b32_e32 v30, v51
	s_waitcnt vmcnt(2)
	v_pk_mul_f32 v[30:31], v[30:31], v[20:21] op_sel_hi:[0,1]
	v_mov_b32_e32 v32, v37
	v_mov_b32_e32 v17, v35
	;; [unrolled: 7-line block ×4, first 2 shown]
	v_pk_fma_f32 v[34:35], v[32:33], v[14:15], v[30:31] op_sel:[0,0,1] op_sel_hi:[0,1,0]
	v_pk_fma_f32 v[32:33], v[32:33], v[14:15], v[30:31] op_sel:[0,0,1] op_sel_hi:[0,1,0] neg_lo:[0,0,1] neg_hi:[0,0,1]
	v_mov_b32_e32 v33, v35
	v_pk_add_f32 v[30:31], v[20:21], v[24:25]
	v_pk_add_f32 v[56:57], v[16:17], v[32:33] neg_lo:[0,1] neg_hi:[0,1]
	v_pk_fma_f32 v[34:35], v[30:31], 0.5, v[8:9] op_sel_hi:[1,0,1] neg_lo:[1,0,0] neg_hi:[1,0,0]
	v_pk_add_f32 v[40:41], v[20:21], v[24:25] neg_lo:[0,1] neg_hi:[0,1]
	v_pk_fma_f32 v[30:31], v[56:57], s[2:3], v[34:35] op_sel:[1,0,0] op_sel_hi:[0,0,1] neg_lo:[1,0,0] neg_hi:[1,0,0]
	v_pk_add_f32 v[58:59], v[16:17], v[20:21] neg_lo:[0,1] neg_hi:[0,1]
	v_pk_add_f32 v[60:61], v[32:33], v[24:25] neg_lo:[0,1] neg_hi:[0,1]
	v_pk_fma_f32 v[34:35], v[56:57], s[2:3], v[34:35] op_sel:[1,0,0] op_sel_hi:[0,0,1]
	v_pk_fma_f32 v[30:31], v[40:41], s[6:7], v[30:31] op_sel:[1,0,0] op_sel_hi:[0,0,1] neg_lo:[1,0,0] neg_hi:[1,0,0]
	v_pk_add_f32 v[58:59], v[58:59], v[60:61]
	v_pk_fma_f32 v[34:35], v[40:41], s[6:7], v[34:35] op_sel:[1,0,0] op_sel_hi:[0,0,1]
	v_pk_fma_f32 v[30:31], v[58:59], s[8:9], v[30:31] op_sel_hi:[1,0,1]
	v_pk_fma_f32 v[34:35], v[58:59], s[8:9], v[34:35] op_sel_hi:[1,0,1]
	v_pk_add_f32 v[58:59], v[16:17], v[32:33]
	v_pk_add_f32 v[14:15], v[8:9], v[16:17]
	v_pk_fma_f32 v[8:9], v[58:59], 0.5, v[8:9] op_sel_hi:[1,0,1] neg_lo:[1,0,0] neg_hi:[1,0,0]
	v_pk_add_f32 v[14:15], v[14:15], v[20:21]
	v_pk_fma_f32 v[58:59], v[40:41], s[2:3], v[8:9] op_sel:[1,0,0] op_sel_hi:[0,0,1]
	v_pk_add_f32 v[16:17], v[20:21], v[16:17] neg_lo:[0,1] neg_hi:[0,1]
	v_pk_add_f32 v[20:21], v[24:25], v[32:33] neg_lo:[0,1] neg_hi:[0,1]
	v_pk_fma_f32 v[8:9], v[40:41], s[2:3], v[8:9] op_sel:[1,0,0] op_sel_hi:[0,0,1] neg_lo:[1,0,0] neg_hi:[1,0,0]
	v_pk_add_f32 v[16:17], v[16:17], v[20:21]
	v_pk_fma_f32 v[8:9], v[56:57], s[6:7], v[8:9] op_sel:[1,0,0] op_sel_hi:[0,0,1]
	v_pk_fma_f32 v[40:41], v[16:17], s[8:9], v[8:9] op_sel_hi:[1,0,1]
	v_mov_b32_e32 v9, v18
	v_mov_b32_e32 v49, v50
	;; [unrolled: 1-line block ×3, first 2 shown]
	v_pk_add_f32 v[14:15], v[14:15], v[24:25]
	v_pk_fma_f32 v[58:59], v[56:57], s[6:7], v[58:59] op_sel:[1,0,0] op_sel_hi:[0,0,1] neg_lo:[1,0,0] neg_hi:[1,0,0]
	v_mov_b32_e32 v29, v36
	v_mov_b32_e32 v8, v10
	v_pk_mul_f32 v[10:11], v[48:49], v[18:19]
	v_pk_add_f32 v[14:15], v[14:15], v[32:33]
	v_pk_fma_f32 v[32:33], v[16:17], s[8:9], v[58:59] op_sel_hi:[1,0,1]
	v_pk_fma_f32 v[16:17], v[28:29], v[8:9], v[10:11] neg_lo:[0,0,1] neg_hi:[0,0,1]
	v_pk_mul_f32 v[10:11], v[28:29], v[18:19]
	v_mov_b32_e32 v55, v52
	v_pk_fma_f32 v[36:37], v[48:49], v[8:9], v[10:11]
	v_mov_b32_e32 v9, v22
	v_mov_b32_e32 v22, v27
	;; [unrolled: 1-line block ×4, first 2 shown]
	v_pk_mul_f32 v[10:11], v[54:55], v[22:23]
	v_mov_b32_e32 v26, v34
	v_pk_fma_f32 v[28:29], v[44:45], v[8:9], v[10:11] neg_lo:[0,0,1] neg_hi:[0,0,1]
	v_pk_mul_f32 v[10:11], v[44:45], v[22:23]
	v_pk_add_f32 v[22:23], v[28:29], v[28:29] op_sel:[0,1] op_sel_hi:[1,0] neg_lo:[0,1] neg_hi:[0,1]
	v_pk_fma_f32 v[38:39], v[54:55], v[8:9], v[10:11]
	v_add_f32_e32 v8, v42, v16
	v_add_f32_e32 v8, v8, v17
	;; [unrolled: 1-line block ×4, first 2 shown]
	v_pk_add_f32 v[8:9], v[16:17], v[28:29]
	v_pk_add_f32 v[10:11], v[36:37], v[38:39] neg_lo:[0,1] neg_hi:[0,1]
	v_pk_fma_f32 v[18:19], v[8:9], 0.5, v[42:43] op_sel_hi:[1,0,0] neg_lo:[1,0,0] neg_hi:[1,0,0]
	v_pk_add_f32 v[8:9], v[16:17], v[16:17] op_sel:[0,1] op_sel_hi:[1,0] neg_lo:[0,1] neg_hi:[0,1]
	v_pk_mul_f32 v[20:21], v[10:11], s[6:7] op_sel_hi:[1,0]
	v_pk_add_f32 v[22:23], v[8:9], v[22:23]
	v_pk_fma_f32 v[8:9], v[10:11], s[2:3], v[18:19] op_sel:[0,0,1] op_sel_hi:[1,0,0]
	s_mov_b32 s7, s8
	v_pk_add_f32 v[24:25], v[8:9], v[20:21] op_sel:[0,1] op_sel_hi:[1,0]
	v_pk_add_f32 v[8:9], v[8:9], v[20:21] op_sel:[0,1] op_sel_hi:[1,0] neg_lo:[0,1] neg_hi:[0,1]
	v_mov_b32_e32 v27, v41
	v_mov_b32_e32 v25, v9
	v_pk_fma_f32 v[8:9], v[22:23], s[8:9], v[24:25] op_sel_hi:[1,0,1]
	v_mov_b32_e32 v24, v31
	v_mov_b32_e32 v25, v32
	v_pk_mul_f32 v[24:25], v[24:25], s[6:7]
	v_pk_fma_f32 v[10:11], v[10:11], s[2:3], v[18:19] op_sel:[0,0,1] op_sel_hi:[1,0,0] neg_lo:[1,0,0] neg_hi:[1,0,0]
	v_pk_fma_f32 v[42:43], v[34:35], s[10:11], v[24:25]
	v_pk_fma_f32 v[24:25], v[26:27], s[10:11], v[24:25] neg_lo:[0,0,1] neg_hi:[0,0,1]
	v_pk_add_f32 v[18:19], v[10:11], v[20:21] op_sel:[0,1] op_sel_hi:[1,0] neg_lo:[0,1] neg_hi:[0,1]
	v_mov_b32_e32 v43, v25
	v_pk_add_f32 v[10:11], v[10:11], v[20:21] op_sel:[0,1] op_sel_hi:[1,0]
	v_pk_add_f32 v[24:25], v[8:9], v[42:43]
	v_pk_add_f32 v[8:9], v[8:9], v[42:43] neg_lo:[0,1] neg_hi:[0,1]
	v_mov_b32_e32 v42, v30
	v_mov_b32_e32 v43, v33
	;; [unrolled: 1-line block ×5, first 2 shown]
	v_pk_mul_f32 v[42:43], v[42:43], s[10:11]
	v_pk_fma_f32 v[10:11], v[22:23], s[8:9], v[18:19] op_sel_hi:[1,0,1]
	v_mov_b32_e32 v18, 2
	v_add_f32_e32 v48, v13, v14
	v_sub_f32_e32 v13, v13, v14
	v_pk_fma_f32 v[44:45], v[26:27], s[6:7], v[42:43] neg_lo:[0,0,1] neg_hi:[0,0,1]
	v_pk_fma_f32 v[26:27], v[26:27], s[6:7], v[42:43]
	v_mul_u32_u24_e32 v14, 0x640, v47
	v_lshlrev_b32_sdwa v18, v18, v62 dst_sel:DWORD dst_unused:UNUSED_PAD src0_sel:DWORD src1_sel:BYTE_0
	v_mov_b32_e32 v45, v27
	v_add3_u32 v19, 0, v14, v18
	v_pk_add_f32 v[20:21], v[10:11], v[44:45]
	v_pk_add_f32 v[10:11], v[10:11], v[44:45] neg_lo:[0,1] neg_hi:[0,1]
	ds_write2_b32 v19, v48, v24 offset1:40
	ds_write2_b32 v19, v21, v25 offset0:80 offset1:120
	ds_write2_b32 v19, v20, v13 offset0:160 offset1:200
	v_add_u32_e32 v13, 0x200, v19
	ds_write2_b32 v13, v8, v11 offset0:112 offset1:152
	v_add_u32_e32 v13, 0x400, v19
	ds_write2_b32 v13, v9, v10 offset0:64 offset1:104
	s_waitcnt lgkmcnt(0)
	s_barrier
	ds_read_b32 v14, v1
	ds_read_b32 v18, v1 offset:1600
	ds_read_b32 v24, v1 offset:3200
	;; [unrolled: 1-line block ×5, first 2 shown]
	s_movk_i32 s2, 0xa0
	s_movk_i32 s6, 0x9f
	v_cmp_gt_u32_e64 s[2:3], s2, v0
	v_cmp_lt_u32_e32 vcc, s6, v0
	s_and_saveexec_b64 s[6:7], vcc
	s_xor_b64 s[6:7], exec, s[6:7]
	s_or_saveexec_b64 s[6:7], s[6:7]
	v_mov_b32_e32 v44, v41
	v_mov_b32_e32 v45, v40
	;; [unrolled: 1-line block ×4, first 2 shown]
	s_xor_b64 exec, exec, s[6:7]
	s_cbranch_execz .LBB0_19
; %bb.18:
	ds_read_b32 v8, v1 offset:960
	ds_read_b32 v11, v1 offset:2560
	;; [unrolled: 1-line block ×6, first 2 shown]
.LBB0_19:
	s_or_b64 exec, exec, s[6:7]
	s_mov_b32 s6, 0xbf167918
	s_mov_b32 s7, 0x3f4f1bbd
	;; [unrolled: 1-line block ×4, first 2 shown]
	v_pk_mul_f32 v[34:35], v[34:35], s[8:9]
	v_add_f32_e32 v13, v12, v36
	v_pk_fma_f32 v[30:31], v[30:31], s[6:7], v[34:35] op_sel:[0,0,1] op_sel_hi:[1,1,0] neg_lo:[0,0,1] neg_hi:[0,0,1]
	s_mov_b32 s6, 0xbf737871
	s_mov_b32 s7, 0x3e9e377a
	;; [unrolled: 1-line block ×4, first 2 shown]
	v_add_f32_e32 v13, v13, v37
	v_pk_mul_f32 v[34:35], v[44:45], s[10:11]
	v_add_f32_e32 v13, v13, v39
	v_pk_fma_f32 v[32:33], v[32:33], s[6:7], v[34:35]
	v_add_f32_e32 v21, v13, v38
	v_pk_add_f32 v[34:35], v[36:37], v[38:39]
	v_mov_b32_e32 v44, v36
	v_mov_b32_e32 v45, v38
	;; [unrolled: 1-line block ×3, first 2 shown]
	v_pk_add_f32 v[36:37], v[44:45], v[38:39] neg_lo:[0,1] neg_hi:[0,1]
	v_mul_f32_e32 v43, 0.5, v35
	v_add_f32_e32 v13, v36, v37
	v_mul_f32_e32 v29, 0.5, v34
	v_pk_add_f32 v[34:35], v[38:39], v[44:45] neg_lo:[0,1] neg_hi:[0,1]
	v_mul_f32_e32 v36, 0x3e9e377a, v13
	v_add_f32_e32 v13, v34, v35
	v_mov_b32_e32 v41, v12
	v_mov_b32_e32 v17, v12
	v_mul_f32_e32 v34, 0x3e9e377a, v13
	v_pk_add_f32 v[38:39], v[40:41], v[42:43] neg_lo:[0,1] neg_hi:[0,1]
	v_pk_add_f32 v[12:13], v[16:17], v[28:29] neg_lo:[0,1] neg_hi:[0,1]
	v_mov_b32_e32 v16, 0x3f167918
	v_mul_f32_e32 v17, 0x3f737871, v12
	v_pk_mul_f32 v[40:41], v[38:39], s[8:9]
	v_pk_add_f32 v[28:29], v[38:39], v[16:17] neg_lo:[0,1] neg_hi:[0,1]
	v_fmamk_f32 v42, v12, 0x3f737871, v39
	v_mov_b32_e32 v43, v40
	v_pk_add_f32 v[28:29], v[28:29], v[42:43] neg_lo:[0,1] neg_hi:[0,1]
	v_pk_fma_f32 v[40:41], v[38:39], v[16:17], v[42:43]
	v_mul_f32_e32 v23, 0x3f737871, v38
	v_mov_b32_e32 v41, v29
	v_pk_add_f32 v[28:29], v[36:37], v[40:41] op_sel_hi:[0,1]
	v_mov_b32_e32 v17, v23
	v_pk_mul_f32 v[36:37], v[12:13], s[8:9]
	v_pk_add_f32 v[40:41], v[12:13], v[16:17]
	v_fmamk_f32 v38, v38, 0xbf737871, v13
	v_mov_b32_e32 v39, v36
	v_pk_fma_f32 v[12:13], v[12:13], v[16:17], v[38:39]
	v_pk_add_f32 v[16:17], v[40:41], v[38:39] neg_lo:[0,1] neg_hi:[0,1]
	v_add_f32_e32 v25, v21, v15
	v_mov_b32_e32 v13, v17
	v_pk_add_f32 v[12:13], v[34:35], v[12:13] op_sel_hi:[0,1]
	v_pk_add_f32 v[34:35], v[28:29], v[30:31]
	v_sub_f32_e32 v15, v21, v15
	v_pk_add_f32 v[36:37], v[12:13], v[32:33]
	v_pk_add_f32 v[16:17], v[12:13], v[32:33] neg_lo:[0,1] neg_hi:[0,1]
	v_pk_add_f32 v[12:13], v[28:29], v[30:31] neg_lo:[0,1] neg_hi:[0,1]
	s_waitcnt lgkmcnt(0)
	s_barrier
	ds_write2_b32 v19, v25, v35 offset1:40
	ds_write2_b32 v19, v37, v36 offset0:80 offset1:120
	ds_write2_b32 v19, v34, v15 offset0:160 offset1:200
	v_add_u32_e32 v15, 0x200, v19
	ds_write2_b32 v15, v13, v17 offset0:112 offset1:152
	v_add_u32_e32 v15, 0x400, v19
	ds_write2_b32 v15, v16, v12 offset0:64 offset1:104
	s_waitcnt lgkmcnt(0)
	s_barrier
	ds_read_b32 v15, v1
	ds_read_b32 v30, v1 offset:1600
	ds_read_b32 v34, v1 offset:3200
	;; [unrolled: 1-line block ×5, first 2 shown]
	s_and_saveexec_b64 s[6:7], vcc
	s_xor_b64 s[6:7], exec, s[6:7]
	s_cbranch_execnz .LBB0_23
; %bb.20:
	s_andn2_saveexec_b64 s[6:7], s[6:7]
	s_cbranch_execnz .LBB0_24
.LBB0_21:
	s_or_b64 exec, exec, s[6:7]
	s_and_saveexec_b64 s[6:7], s[0:1]
	s_cbranch_execnz .LBB0_25
.LBB0_22:
	s_endpgm
.LBB0_23:
                                        ; implicit-def: $vgpr1
	s_andn2_saveexec_b64 s[6:7], s[6:7]
	s_cbranch_execz .LBB0_21
.LBB0_24:
	ds_read_b32 v13, v1 offset:960
	ds_read_b32 v17, v1 offset:2560
	;; [unrolled: 1-line block ×6, first 2 shown]
	s_or_b64 exec, exec, s[6:7]
	s_and_saveexec_b64 s[6:7], s[0:1]
	s_cbranch_execz .LBB0_22
.LBB0_25:
	v_mul_u32_u24_e32 v1, 5, v0
	v_lshlrev_b32_e32 v1, 3, v1
	global_load_dwordx4 v[40:43], v1, s[4:5] offset:3168
	global_load_dwordx4 v[48:51], v1, s[4:5] offset:3184
	global_load_dwordx2 v[44:45], v1, s[4:5] offset:3200
	v_mov_b32_e32 v1, 0
	s_movk_i32 s6, 0x1000
	v_lshl_add_u64 v[28:29], v[0:1], 3, v[2:3]
	s_mov_b32 s0, 0x3f5db3d7
	v_add_co_u32_e32 v2, vcc, s6, v28
	s_mov_b32 s1, 0xbf5db3d7
	s_nop 0
	v_addc_co_u32_e32 v3, vcc, 0, v29, vcc
	v_add_co_u32_e32 v52, vcc, 0x2000, v28
	s_waitcnt vmcnt(2) lgkmcnt(3)
	v_pk_mul_f32 v[34:35], v[34:35], v[42:43] op_sel_hi:[0,1]
	s_waitcnt vmcnt(1) lgkmcnt(1)
	v_pk_mul_f32 v[38:39], v[38:39], v[50:51] op_sel_hi:[0,1]
	v_pk_mul_f32 v[32:33], v[32:33], v[48:49] op_sel_hi:[0,1]
	s_waitcnt vmcnt(0) lgkmcnt(0)
	v_pk_mul_f32 v[36:37], v[36:37], v[44:45] op_sel_hi:[0,1]
	v_pk_mul_f32 v[30:31], v[30:31], v[40:41] op_sel_hi:[0,1]
	v_pk_fma_f32 v[56:57], v[24:25], v[42:43], v[34:35] op_sel:[0,0,1] op_sel_hi:[1,1,0] neg_lo:[0,0,1] neg_hi:[0,0,1]
	v_pk_fma_f32 v[24:25], v[24:25], v[42:43], v[34:35] op_sel:[0,0,1] op_sel_hi:[0,1,0]
	v_pk_fma_f32 v[34:35], v[26:27], v[50:51], v[38:39] op_sel:[0,0,1] op_sel_hi:[1,1,0] neg_lo:[0,0,1] neg_hi:[0,0,1]
	v_pk_fma_f32 v[26:27], v[26:27], v[50:51], v[38:39] op_sel:[0,0,1] op_sel_hi:[0,1,0]
	;; [unrolled: 2-line block ×5, first 2 shown]
	v_mov_b32_e32 v39, v21
	v_mov_b32_e32 v33, v23
	;; [unrolled: 1-line block ×5, first 2 shown]
	v_pk_add_f32 v[24:25], v[38:39], v[32:33]
	v_pk_add_f32 v[18:19], v[14:15], v[56:57]
	;; [unrolled: 1-line block ×3, first 2 shown]
	v_pk_add_f32 v[22:23], v[38:39], v[32:33] neg_lo:[0,1] neg_hi:[0,1]
	v_pk_add_f32 v[26:27], v[56:57], v[34:35]
	v_pk_add_f32 v[30:31], v[56:57], v[34:35] neg_lo:[0,1] neg_hi:[0,1]
	v_pk_fma_f32 v[24:25], v[24:25], 0.5, v[36:37] op_sel_hi:[1,0,1] neg_lo:[1,0,0] neg_hi:[1,0,0]
	v_pk_add_f32 v[18:19], v[18:19], v[34:35]
	v_pk_add_f32 v[20:21], v[20:21], v[32:33]
	v_pk_fma_f32 v[14:15], v[26:27], 0.5, v[14:15] op_sel_hi:[1,0,1] neg_lo:[1,0,0] neg_hi:[1,0,0]
	v_pk_mul_f32 v[26:27], v[30:31], s[0:1] op_sel_hi:[1,0]
	v_pk_fma_f32 v[32:33], v[22:23], s[0:1], v[24:25] op_sel:[0,0,1] op_sel_hi:[1,0,0]
	v_pk_fma_f32 v[22:23], v[22:23], s[0:1], v[24:25] op_sel:[0,0,1] op_sel_hi:[1,0,0] neg_lo:[1,0,0] neg_hi:[1,0,0]
	v_addc_co_u32_e32 v53, vcc, 0, v29, vcc
	v_pk_add_f32 v[30:31], v[18:19], v[20:21]
	v_pk_add_f32 v[24:25], v[14:15], v[26:27] op_sel:[0,1] op_sel_hi:[1,0] neg_lo:[0,1] neg_hi:[0,1]
	v_pk_add_f32 v[14:15], v[14:15], v[26:27] op_sel:[0,1] op_sel_hi:[1,0]
	v_pk_add_f32 v[18:19], v[18:19], v[20:21] neg_lo:[0,1] neg_hi:[0,1]
	v_mov_b32_e32 v20, v32
	v_mov_b32_e32 v21, v23
	;; [unrolled: 1-line block ×3, first 2 shown]
	v_mul_f32_e32 v15, 0xbf5db3d7, v33
	v_mul_f32_e32 v23, 0x3f5db3d7, v22
	global_store_dwordx2 v[52:53], v[18:19], off offset:1408
	v_pk_mul_f32 v[18:19], v[20:21], 0.5 op_sel_hi:[1,0]
	v_mov_b32_e32 v26, v24
	v_fmac_f32_e32 v15, 0.5, v22
	v_fmac_f32_e32 v23, 0.5, v33
	v_pk_fma_f32 v[18:19], v[20:21], s[0:1], v[18:19] op_sel:[0,0,1] op_sel_hi:[1,1,0] neg_lo:[0,0,1] neg_hi:[0,0,1]
	v_add_co_u32_e32 v54, vcc, 0x3000, v28
	v_sub_f32_e32 v21, v25, v15
	v_sub_f32_e32 v20, v14, v23
	v_add_f32_e32 v15, v25, v15
	v_add_f32_e32 v14, v14, v23
	v_pk_add_f32 v[22:23], v[26:27], v[18:19]
	v_addc_co_u32_e32 v55, vcc, 0, v29, vcc
	global_store_dwordx2 v[28:29], v[30:31], off
	global_store_dwordx2 v[28:29], v[14:15], off offset:3200
	global_store_dwordx2 v[54:55], v[20:21], off offset:512
	v_pk_add_f32 v[14:15], v[26:27], v[18:19] neg_lo:[0,1] neg_hi:[0,1]
	global_store_dwordx2 v[2:3], v[22:23], off offset:2304
	global_store_dwordx2 v[54:55], v[14:15], off offset:3712
	s_and_b64 exec, exec, s[2:3]
	s_cbranch_execz .LBB0_22
; %bb.26:
	v_add_u32_e32 v0, 0xffffff60, v0
	v_cndmask_b32_e64 v0, v0, v46, s[2:3]
	v_mul_i32_i24_e32 v0, 5, v0
	v_lshl_add_u64 v[0:1], v[0:1], 3, s[4:5]
	global_load_dwordx4 v[18:21], v[0:1], off offset:3168
	global_load_dwordx4 v[22:25], v[0:1], off offset:3184
	global_load_dwordx2 v[14:15], v[0:1], off offset:3200
	v_add_co_u32_e32 v0, vcc, 0x2000, v28
	s_waitcnt vmcnt(2)
	v_pk_mul_f32 v[32:33], v[16:17], v[18:19] op_sel:[1,0]
	v_pk_mul_f32 v[16:17], v[16:17], v[20:21] op_sel_hi:[0,1]
	s_waitcnt vmcnt(1)
	v_pk_mul_f32 v[34:35], v[12:13], v[22:23] op_sel_hi:[0,1]
	v_pk_mul_f32 v[36:37], v[6:7], v[24:25] op_sel_hi:[0,1]
	s_waitcnt vmcnt(0)
	v_pk_mul_f32 v[6:7], v[6:7], v[14:15] op_sel:[1,0]
	v_pk_fma_f32 v[38:39], v[10:11], v[18:19], v[32:33] op_sel:[1,0,1] op_sel_hi:[1,1,0] neg_lo:[0,0,1] neg_hi:[0,0,1]
	v_pk_fma_f32 v[18:19], v[10:11], v[18:19], v[32:33] op_sel:[1,0,1] op_sel_hi:[1,1,0]
	v_pk_fma_f32 v[32:33], v[8:9], v[20:21], v[16:17] op_sel:[1,0,1] op_sel_hi:[1,1,0] neg_lo:[0,0,1] neg_hi:[0,0,1]
	v_pk_fma_f32 v[16:17], v[8:9], v[20:21], v[16:17] op_sel:[1,0,1] op_sel_hi:[1,1,0]
	;; [unrolled: 2-line block ×5, first 2 shown]
	v_mov_b32_e32 v33, v17
	v_mov_b32_e32 v21, v11
	;; [unrolled: 1-line block ×6, first 2 shown]
	v_pk_add_f32 v[10:11], v[32:33], v[22:23]
	v_pk_add_f32 v[12:13], v[32:33], v[22:23] neg_lo:[0,1] neg_hi:[0,1]
	v_pk_add_f32 v[14:15], v[20:21], v[34:35]
	v_pk_add_f32 v[4:5], v[8:9], v[32:33]
	;; [unrolled: 1-line block ×3, first 2 shown]
	v_pk_add_f32 v[16:17], v[20:21], v[34:35] neg_lo:[0,1] neg_hi:[0,1]
	v_pk_fma_f32 v[8:9], v[10:11], 0.5, v[8:9] op_sel_hi:[1,0,1] neg_lo:[1,0,0] neg_hi:[1,0,0]
	v_pk_mul_f32 v[10:11], v[12:13], s[0:1] op_sel_hi:[1,0]
	v_pk_fma_f32 v[12:13], v[14:15], 0.5, v[38:39] op_sel_hi:[1,0,1] neg_lo:[1,0,0] neg_hi:[1,0,0]
	v_addc_co_u32_e32 v1, vcc, 0, v29, vcc
	v_pk_add_f32 v[4:5], v[4:5], v[22:23]
	v_pk_add_f32 v[6:7], v[6:7], v[34:35]
	v_pk_add_f32 v[18:19], v[10:11], v[8:9] op_sel:[1,0] op_sel_hi:[0,1]
	v_pk_add_f32 v[8:9], v[8:9], v[10:11] op_sel:[0,1] op_sel_hi:[1,0] neg_lo:[0,1] neg_hi:[0,1]
	v_pk_fma_f32 v[10:11], v[16:17], s[0:1], v[12:13] op_sel:[0,0,1] op_sel_hi:[1,0,0]
	v_pk_fma_f32 v[12:13], v[16:17], s[0:1], v[12:13] op_sel:[0,0,1] op_sel_hi:[1,0,0] neg_lo:[1,0,0] neg_hi:[1,0,0]
	v_add_co_u32_e32 v26, vcc, 0x3000, v28
	v_pk_add_f32 v[14:15], v[4:5], v[6:7]
	v_pk_add_f32 v[4:5], v[4:5], v[6:7] neg_lo:[0,1] neg_hi:[0,1]
	v_mov_b32_e32 v6, v8
	v_mov_b32_e32 v16, v10
	;; [unrolled: 1-line block ×3, first 2 shown]
	v_mul_f32_e32 v8, 0x3f5db3d7, v12
	v_mul_f32_e32 v13, 0xbf5db3d7, v11
	v_addc_co_u32_e32 v27, vcc, 0, v29, vcc
	global_store_dwordx2 v[28:29], v[14:15], off offset:1920
	global_store_dwordx2 v[0:1], v[4:5], off offset:3328
	v_fmac_f32_e32 v8, 0.5, v11
	v_pk_mul_f32 v[4:5], v[16:17], 0.5 op_sel_hi:[1,0]
	v_fmac_f32_e32 v13, 0.5, v12
	v_add_co_u32_e32 v30, vcc, 0x4000, v28
	v_mov_b32_e32 v7, v19
	v_add_f32_e32 v10, v18, v8
	v_pk_fma_f32 v[4:5], v[16:17], s[0:1], v[4:5] op_sel:[0,0,1] op_sel_hi:[1,1,0] neg_lo:[0,0,1] neg_hi:[0,0,1]
	v_add_f32_e32 v11, v9, v13
	v_addc_co_u32_e32 v31, vcc, 0, v29, vcc
	v_sub_f32_e32 v8, v18, v8
	v_sub_f32_e32 v9, v9, v13
	v_pk_add_f32 v[12:13], v[6:7], v[4:5]
	v_pk_add_f32 v[4:5], v[6:7], v[4:5] neg_lo:[0,1] neg_hi:[0,1]
	global_store_dwordx2 v[2:3], v[10:11], off offset:1024
	global_store_dwordx2 v[26:27], v[8:9], off offset:2432
	;; [unrolled: 1-line block ×4, first 2 shown]
	s_endpgm
	.section	.rodata,"a",@progbits
	.p2align	6, 0x0
	.amdhsa_kernel fft_rtc_fwd_len2400_factors_4_10_10_6_wgs_240_tpt_240_halfLds_sp_ip_CI_unitstride_sbrr_dirReg
		.amdhsa_group_segment_fixed_size 0
		.amdhsa_private_segment_fixed_size 0
		.amdhsa_kernarg_size 88
		.amdhsa_user_sgpr_count 2
		.amdhsa_user_sgpr_dispatch_ptr 0
		.amdhsa_user_sgpr_queue_ptr 0
		.amdhsa_user_sgpr_kernarg_segment_ptr 1
		.amdhsa_user_sgpr_dispatch_id 0
		.amdhsa_user_sgpr_kernarg_preload_length 0
		.amdhsa_user_sgpr_kernarg_preload_offset 0
		.amdhsa_user_sgpr_private_segment_size 0
		.amdhsa_uses_dynamic_stack 0
		.amdhsa_enable_private_segment 0
		.amdhsa_system_sgpr_workgroup_id_x 1
		.amdhsa_system_sgpr_workgroup_id_y 0
		.amdhsa_system_sgpr_workgroup_id_z 0
		.amdhsa_system_sgpr_workgroup_info 0
		.amdhsa_system_vgpr_workitem_id 0
		.amdhsa_next_free_vgpr 63
		.amdhsa_next_free_sgpr 22
		.amdhsa_accum_offset 64
		.amdhsa_reserve_vcc 1
		.amdhsa_float_round_mode_32 0
		.amdhsa_float_round_mode_16_64 0
		.amdhsa_float_denorm_mode_32 3
		.amdhsa_float_denorm_mode_16_64 3
		.amdhsa_dx10_clamp 1
		.amdhsa_ieee_mode 1
		.amdhsa_fp16_overflow 0
		.amdhsa_tg_split 0
		.amdhsa_exception_fp_ieee_invalid_op 0
		.amdhsa_exception_fp_denorm_src 0
		.amdhsa_exception_fp_ieee_div_zero 0
		.amdhsa_exception_fp_ieee_overflow 0
		.amdhsa_exception_fp_ieee_underflow 0
		.amdhsa_exception_fp_ieee_inexact 0
		.amdhsa_exception_int_div_zero 0
	.end_amdhsa_kernel
	.text
.Lfunc_end0:
	.size	fft_rtc_fwd_len2400_factors_4_10_10_6_wgs_240_tpt_240_halfLds_sp_ip_CI_unitstride_sbrr_dirReg, .Lfunc_end0-fft_rtc_fwd_len2400_factors_4_10_10_6_wgs_240_tpt_240_halfLds_sp_ip_CI_unitstride_sbrr_dirReg
                                        ; -- End function
	.section	.AMDGPU.csdata,"",@progbits
; Kernel info:
; codeLenInByte = 6360
; NumSgprs: 28
; NumVgprs: 63
; NumAgprs: 0
; TotalNumVgprs: 63
; ScratchSize: 0
; MemoryBound: 0
; FloatMode: 240
; IeeeMode: 1
; LDSByteSize: 0 bytes/workgroup (compile time only)
; SGPRBlocks: 3
; VGPRBlocks: 7
; NumSGPRsForWavesPerEU: 28
; NumVGPRsForWavesPerEU: 63
; AccumOffset: 64
; Occupancy: 8
; WaveLimiterHint : 1
; COMPUTE_PGM_RSRC2:SCRATCH_EN: 0
; COMPUTE_PGM_RSRC2:USER_SGPR: 2
; COMPUTE_PGM_RSRC2:TRAP_HANDLER: 0
; COMPUTE_PGM_RSRC2:TGID_X_EN: 1
; COMPUTE_PGM_RSRC2:TGID_Y_EN: 0
; COMPUTE_PGM_RSRC2:TGID_Z_EN: 0
; COMPUTE_PGM_RSRC2:TIDIG_COMP_CNT: 0
; COMPUTE_PGM_RSRC3_GFX90A:ACCUM_OFFSET: 15
; COMPUTE_PGM_RSRC3_GFX90A:TG_SPLIT: 0
	.text
	.p2alignl 6, 3212836864
	.fill 256, 4, 3212836864
	.type	__hip_cuid_87acc0b410b2131c,@object ; @__hip_cuid_87acc0b410b2131c
	.section	.bss,"aw",@nobits
	.globl	__hip_cuid_87acc0b410b2131c
__hip_cuid_87acc0b410b2131c:
	.byte	0                               ; 0x0
	.size	__hip_cuid_87acc0b410b2131c, 1

	.ident	"AMD clang version 19.0.0git (https://github.com/RadeonOpenCompute/llvm-project roc-6.4.0 25133 c7fe45cf4b819c5991fe208aaa96edf142730f1d)"
	.section	".note.GNU-stack","",@progbits
	.addrsig
	.addrsig_sym __hip_cuid_87acc0b410b2131c
	.amdgpu_metadata
---
amdhsa.kernels:
  - .agpr_count:     0
    .args:
      - .actual_access:  read_only
        .address_space:  global
        .offset:         0
        .size:           8
        .value_kind:     global_buffer
      - .offset:         8
        .size:           8
        .value_kind:     by_value
      - .actual_access:  read_only
        .address_space:  global
        .offset:         16
        .size:           8
        .value_kind:     global_buffer
      - .actual_access:  read_only
        .address_space:  global
        .offset:         24
        .size:           8
        .value_kind:     global_buffer
      - .offset:         32
        .size:           8
        .value_kind:     by_value
      - .actual_access:  read_only
        .address_space:  global
        .offset:         40
        .size:           8
        .value_kind:     global_buffer
      - .actual_access:  read_only
        .address_space:  global
        .offset:         48
        .size:           8
        .value_kind:     global_buffer
      - .offset:         56
        .size:           4
        .value_kind:     by_value
      - .actual_access:  read_only
        .address_space:  global
        .offset:         64
        .size:           8
        .value_kind:     global_buffer
      - .actual_access:  read_only
        .address_space:  global
        .offset:         72
        .size:           8
        .value_kind:     global_buffer
      - .address_space:  global
        .offset:         80
        .size:           8
        .value_kind:     global_buffer
    .group_segment_fixed_size: 0
    .kernarg_segment_align: 8
    .kernarg_segment_size: 88
    .language:       OpenCL C
    .language_version:
      - 2
      - 0
    .max_flat_workgroup_size: 240
    .name:           fft_rtc_fwd_len2400_factors_4_10_10_6_wgs_240_tpt_240_halfLds_sp_ip_CI_unitstride_sbrr_dirReg
    .private_segment_fixed_size: 0
    .sgpr_count:     28
    .sgpr_spill_count: 0
    .symbol:         fft_rtc_fwd_len2400_factors_4_10_10_6_wgs_240_tpt_240_halfLds_sp_ip_CI_unitstride_sbrr_dirReg.kd
    .uniform_work_group_size: 1
    .uses_dynamic_stack: false
    .vgpr_count:     63
    .vgpr_spill_count: 0
    .wavefront_size: 64
amdhsa.target:   amdgcn-amd-amdhsa--gfx950
amdhsa.version:
  - 1
  - 2
...

	.end_amdgpu_metadata
